;; amdgpu-corpus repo=ROCm/rocFFT kind=compiled arch=gfx950 opt=O3
	.text
	.amdgcn_target "amdgcn-amd-amdhsa--gfx950"
	.amdhsa_code_object_version 6
	.protected	fft_rtc_fwd_len121_factors_11_11_wgs_121_tpt_11_dp_op_CI_CI_sbcc_dirReg ; -- Begin function fft_rtc_fwd_len121_factors_11_11_wgs_121_tpt_11_dp_op_CI_CI_sbcc_dirReg
	.globl	fft_rtc_fwd_len121_factors_11_11_wgs_121_tpt_11_dp_op_CI_CI_sbcc_dirReg
	.p2align	8
	.type	fft_rtc_fwd_len121_factors_11_11_wgs_121_tpt_11_dp_op_CI_CI_sbcc_dirReg,@function
fft_rtc_fwd_len121_factors_11_11_wgs_121_tpt_11_dp_op_CI_CI_sbcc_dirReg: ; @fft_rtc_fwd_len121_factors_11_11_wgs_121_tpt_11_dp_op_CI_CI_sbcc_dirReg
; %bb.0:
	s_load_dwordx4 s[16:19], s[0:1], 0x18
	s_load_dwordx2 s[28:29], s[0:1], 0x28
	s_mov_b32 s3, 0
	s_mov_b64 s[22:23], 0
	s_waitcnt lgkmcnt(0)
	s_load_dwordx2 s[26:27], s[16:17], 0x8
	s_waitcnt lgkmcnt(0)
	s_add_u32 s4, s26, -1
	s_addc_u32 s5, s27, -1
	s_add_u32 s6, 0, 0x5d161400
	s_addc_u32 s7, 0, 0x54
	s_mul_hi_u32 s9, s6, -11
	s_add_i32 s7, s7, 0x1745d120
	s_sub_i32 s9, s9, s6
	s_mul_i32 s12, s7, -11
	s_mul_i32 s8, s6, -11
	s_add_i32 s9, s9, s12
	s_mul_hi_u32 s10, s7, s8
	s_mul_i32 s11, s7, s8
	s_mul_i32 s13, s6, s9
	s_mul_hi_u32 s8, s6, s8
	s_mul_hi_u32 s12, s6, s9
	s_add_u32 s8, s8, s13
	s_addc_u32 s12, 0, s12
	s_add_u32 s8, s8, s11
	s_mul_hi_u32 s13, s7, s9
	s_addc_u32 s8, s12, s10
	s_addc_u32 s10, s13, 0
	s_mul_i32 s9, s7, s9
	s_add_u32 s8, s8, s9
	v_mov_b32_e32 v1, s8
	s_addc_u32 s9, 0, s10
	v_add_co_u32_e32 v1, vcc, s6, v1
	s_cmp_lg_u64 vcc, 0
	s_addc_u32 s6, s7, s9
	v_readfirstlane_b32 s9, v1
	s_mul_i32 s8, s4, s6
	s_mul_hi_u32 s10, s4, s9
	s_mul_hi_u32 s7, s4, s6
	s_add_u32 s8, s10, s8
	s_addc_u32 s7, 0, s7
	s_mul_hi_u32 s11, s5, s9
	s_mul_i32 s9, s5, s9
	s_add_u32 s8, s8, s9
	s_mul_hi_u32 s10, s5, s6
	s_addc_u32 s7, s7, s11
	s_addc_u32 s8, s10, 0
	s_mul_i32 s6, s5, s6
	s_add_u32 s6, s7, s6
	s_addc_u32 s7, 0, s8
	s_add_u32 s8, s6, 1
	s_addc_u32 s9, s7, 0
	s_add_u32 s10, s6, 2
	s_mul_i32 s12, s7, 11
	s_mul_hi_u32 s13, s6, 11
	s_addc_u32 s11, s7, 0
	s_add_i32 s13, s13, s12
	s_mul_i32 s12, s6, 11
	v_mov_b32_e32 v1, s12
	v_sub_co_u32_e32 v1, vcc, s4, v1
	s_cmp_lg_u64 vcc, 0
	s_subb_u32 s4, s5, s13
	v_subrev_co_u32_e32 v2, vcc, 11, v1
	s_cmp_lg_u64 vcc, 0
	s_subb_u32 s5, s4, 0
	v_readfirstlane_b32 s12, v2
	s_cmp_gt_u32 s12, 10
	s_cselect_b32 s12, -1, 0
	s_cmp_eq_u32 s5, 0
	s_cselect_b32 s5, s12, -1
	s_cmp_lg_u32 s5, 0
	s_cselect_b32 s5, s10, s8
	s_cselect_b32 s8, s11, s9
	v_readfirstlane_b32 s9, v1
	s_cmp_gt_u32 s9, 10
	s_cselect_b32 s9, -1, 0
	s_cmp_eq_u32 s4, 0
	s_cselect_b32 s4, s9, -1
	s_cmp_lg_u32 s4, 0
	s_cselect_b32 s5, s5, s6
	s_cselect_b32 s4, s8, s7
	s_add_u32 s34, s5, 1
	s_addc_u32 s35, s4, 0
	v_mov_b64_e32 v[2:3], s[34:35]
	v_cmp_lt_u64_e32 vcc, s[2:3], v[2:3]
	s_cbranch_vccnz .LBB0_2
; %bb.1:
	v_cvt_f32_u32_e32 v1, s34
	s_sub_i32 s4, 0, s34
	s_mov_b32 s23, s3
	v_rcp_iflag_f32_e32 v1, v1
	s_nop 0
	v_mul_f32_e32 v1, 0x4f7ffffe, v1
	v_cvt_u32_f32_e32 v1, v1
	s_nop 0
	v_readfirstlane_b32 s5, v1
	s_mul_i32 s4, s4, s5
	s_mul_hi_u32 s4, s5, s4
	s_add_i32 s5, s5, s4
	s_mul_hi_u32 s4, s2, s5
	s_mul_i32 s6, s4, s34
	s_sub_i32 s6, s2, s6
	s_add_i32 s5, s4, 1
	s_sub_i32 s7, s6, s34
	s_cmp_ge_u32 s6, s34
	s_cselect_b32 s4, s5, s4
	s_cselect_b32 s6, s7, s6
	s_add_i32 s5, s4, 1
	s_cmp_ge_u32 s6, s34
	s_cselect_b32 s22, s5, s4
.LBB0_2:
	s_load_dwordx4 s[8:11], s[0:1], 0x60
	s_load_dwordx4 s[12:15], s[18:19], 0x0
	;; [unrolled: 1-line block ×3, first 2 shown]
	s_load_dwordx2 s[24:25], s[0:1], 0x0
	s_load_dwordx2 s[38:39], s[0:1], 0x10
	s_mul_i32 s0, s22, s35
	s_mul_hi_u32 s1, s22, s34
	s_add_i32 s1, s1, s0
	s_mul_i32 s0, s22, s34
	s_sub_u32 s0, s2, s0
	s_subb_u32 s1, 0, s1
	s_mul_i32 s1, s1, 11
	s_mul_hi_u32 s20, s0, 11
	s_add_i32 s37, s20, s1
	s_mul_i32 s36, s0, 11
	s_waitcnt lgkmcnt(0)
	s_mul_i32 s0, s14, s37
	s_mul_hi_u32 s1, s14, s36
	s_add_i32 s0, s1, s0
	s_mul_i32 s1, s15, s36
	s_add_i32 s31, s0, s1
	s_mul_i32 s0, s6, s37
	s_mul_hi_u32 s1, s6, s36
	s_add_i32 s0, s1, s0
	s_mul_i32 s1, s7, s36
	s_add_i32 s21, s0, s1
	v_cmp_lt_u64_e64 s[0:1], s[38:39], 3
	s_mul_i32 s30, s14, s36
	s_mul_i32 s20, s6, s36
	s_and_b64 vcc, exec, s[0:1]
	s_cbranch_vccnz .LBB0_12
; %bb.3:
	s_add_u32 s40, s28, 16
	s_addc_u32 s41, s29, 0
	s_add_u32 s42, s18, 16
	s_addc_u32 s43, s19, 0
	;; [unrolled: 2-line block ×3, first 2 shown]
	s_mov_b64 s[44:45], 2
	s_mov_b32 s46, 0
	v_mov_b64_e32 v[2:3], s[38:39]
.LBB0_4:                                ; =>This Inner Loop Header: Depth=1
	s_load_dwordx2 s[48:49], s[16:17], 0x0
	s_waitcnt lgkmcnt(0)
	s_or_b64 s[0:1], s[22:23], s[48:49]
	s_mov_b32 s47, s1
	s_cmp_lg_u64 s[46:47], 0
	s_cbranch_scc0 .LBB0_9
; %bb.5:                                ;   in Loop: Header=BB0_4 Depth=1
	v_cvt_f32_u32_e32 v1, s48
	v_cvt_f32_u32_e32 v4, s49
	s_sub_u32 s0, 0, s48
	s_subb_u32 s1, 0, s49
	v_fmac_f32_e32 v1, 0x4f800000, v4
	v_rcp_f32_e32 v1, v1
	s_nop 0
	v_mul_f32_e32 v1, 0x5f7ffffc, v1
	v_mul_f32_e32 v4, 0x2f800000, v1
	v_trunc_f32_e32 v4, v4
	v_fmac_f32_e32 v1, 0xcf800000, v4
	v_cvt_u32_f32_e32 v4, v4
	v_cvt_u32_f32_e32 v1, v1
	v_readfirstlane_b32 s33, v4
	v_readfirstlane_b32 s47, v1
	s_mul_i32 s50, s0, s33
	s_mul_hi_u32 s52, s0, s47
	s_mul_i32 s51, s1, s47
	s_add_i32 s50, s52, s50
	s_mul_i32 s53, s0, s47
	s_add_i32 s50, s50, s51
	s_mul_hi_u32 s51, s47, s50
	s_mul_i32 s52, s47, s50
	s_mul_hi_u32 s47, s47, s53
	s_add_u32 s47, s47, s52
	s_addc_u32 s51, 0, s51
	s_mul_hi_u32 s54, s33, s53
	s_mul_i32 s53, s33, s53
	s_add_u32 s47, s47, s53
	s_mul_hi_u32 s52, s33, s50
	s_addc_u32 s47, s51, s54
	s_addc_u32 s51, s52, 0
	s_mul_i32 s50, s33, s50
	s_add_u32 s47, s47, s50
	s_addc_u32 s50, 0, s51
	v_add_co_u32_e32 v1, vcc, s47, v1
	s_cmp_lg_u64 vcc, 0
	s_addc_u32 s33, s33, s50
	v_readfirstlane_b32 s50, v1
	s_mul_i32 s47, s0, s33
	s_mul_hi_u32 s51, s0, s50
	s_add_i32 s47, s51, s47
	s_mul_i32 s1, s1, s50
	s_add_i32 s47, s47, s1
	s_mul_i32 s0, s0, s50
	s_mul_hi_u32 s51, s33, s0
	s_mul_i32 s52, s33, s0
	s_mul_i32 s54, s50, s47
	s_mul_hi_u32 s0, s50, s0
	s_mul_hi_u32 s53, s50, s47
	s_add_u32 s0, s0, s54
	s_addc_u32 s50, 0, s53
	s_add_u32 s0, s0, s52
	s_mul_hi_u32 s1, s33, s47
	s_addc_u32 s0, s50, s51
	s_addc_u32 s1, s1, 0
	s_mul_i32 s47, s33, s47
	s_add_u32 s0, s0, s47
	s_addc_u32 s1, 0, s1
	v_add_co_u32_e32 v1, vcc, s0, v1
	s_cmp_lg_u64 vcc, 0
	s_addc_u32 s0, s33, s1
	v_readfirstlane_b32 s47, v1
	s_mul_i32 s33, s22, s0
	s_mul_hi_u32 s50, s22, s47
	s_mul_hi_u32 s1, s22, s0
	s_add_u32 s33, s50, s33
	s_addc_u32 s1, 0, s1
	s_mul_hi_u32 s51, s23, s47
	s_mul_i32 s47, s23, s47
	s_add_u32 s33, s33, s47
	s_mul_hi_u32 s50, s23, s0
	s_addc_u32 s1, s1, s51
	s_addc_u32 s33, s50, 0
	s_mul_i32 s0, s23, s0
	s_add_u32 s47, s1, s0
	s_addc_u32 s33, 0, s33
	s_mul_i32 s0, s48, s33
	s_mul_hi_u32 s1, s48, s47
	s_add_i32 s0, s1, s0
	s_mul_i32 s1, s49, s47
	s_add_i32 s50, s0, s1
	s_mul_i32 s1, s48, s47
	v_mov_b32_e32 v1, s1
	s_sub_i32 s0, s23, s50
	v_sub_co_u32_e32 v1, vcc, s22, v1
	s_cmp_lg_u64 vcc, 0
	s_subb_u32 s51, s0, s49
	v_subrev_co_u32_e64 v4, s[0:1], s48, v1
	s_cmp_lg_u64 s[0:1], 0
	s_subb_u32 s0, s51, 0
	s_cmp_ge_u32 s0, s49
	v_readfirstlane_b32 s51, v4
	s_cselect_b32 s1, -1, 0
	s_cmp_ge_u32 s51, s48
	s_cselect_b32 s51, -1, 0
	s_cmp_eq_u32 s0, s49
	s_cselect_b32 s0, s51, s1
	s_add_u32 s1, s47, 1
	s_addc_u32 s51, s33, 0
	s_add_u32 s52, s47, 2
	s_addc_u32 s53, s33, 0
	s_cmp_lg_u32 s0, 0
	s_cselect_b32 s0, s52, s1
	s_cselect_b32 s1, s53, s51
	s_cmp_lg_u64 vcc, 0
	s_subb_u32 s50, s23, s50
	s_cmp_ge_u32 s50, s49
	v_readfirstlane_b32 s52, v1
	s_cselect_b32 s51, -1, 0
	s_cmp_ge_u32 s52, s48
	s_cselect_b32 s52, -1, 0
	s_cmp_eq_u32 s50, s49
	s_cselect_b32 s50, s52, s51
	s_cmp_lg_u32 s50, 0
	s_cselect_b32 s1, s1, s33
	s_cselect_b32 s0, s0, s47
	s_cbranch_execnz .LBB0_7
.LBB0_6:                                ;   in Loop: Header=BB0_4 Depth=1
	v_cvt_f32_u32_e32 v1, s48
	s_sub_i32 s0, 0, s48
	v_rcp_iflag_f32_e32 v1, v1
	s_nop 0
	v_mul_f32_e32 v1, 0x4f7ffffe, v1
	v_cvt_u32_f32_e32 v1, v1
	s_nop 0
	v_readfirstlane_b32 s1, v1
	s_mul_i32 s0, s0, s1
	s_mul_hi_u32 s0, s1, s0
	s_add_i32 s1, s1, s0
	s_mul_hi_u32 s0, s22, s1
	s_mul_i32 s33, s0, s48
	s_sub_i32 s33, s22, s33
	s_add_i32 s1, s0, 1
	s_sub_i32 s47, s33, s48
	s_cmp_ge_u32 s33, s48
	s_cselect_b32 s0, s1, s0
	s_cselect_b32 s33, s47, s33
	s_add_i32 s1, s0, 1
	s_cmp_ge_u32 s33, s48
	s_cselect_b32 s0, s1, s0
	s_mov_b32 s1, s46
.LBB0_7:                                ;   in Loop: Header=BB0_4 Depth=1
	s_mul_i32 s33, s48, s35
	s_mul_hi_u32 s35, s48, s34
	s_add_i32 s33, s35, s33
	s_mul_i32 s35, s49, s34
	s_add_i32 s35, s33, s35
	s_mul_i32 s33, s0, s49
	s_mul_hi_u32 s47, s0, s48
	s_load_dwordx2 s[50:51], s[42:43], 0x0
	s_add_i32 s33, s47, s33
	s_mul_i32 s47, s1, s48
	s_add_i32 s33, s33, s47
	s_mul_i32 s47, s0, s48
	s_sub_u32 s47, s22, s47
	s_subb_u32 s33, s23, s33
	s_waitcnt lgkmcnt(0)
	s_mul_i32 s22, s50, s33
	s_mul_hi_u32 s23, s50, s47
	s_mul_i32 s34, s48, s34
	s_add_i32 s48, s23, s22
	s_load_dwordx2 s[22:23], s[40:41], 0x0
	s_mul_i32 s49, s51, s47
	s_add_i32 s48, s48, s49
	s_mul_i32 s49, s50, s47
	s_add_u32 s30, s49, s30
	s_addc_u32 s31, s48, s31
	s_waitcnt lgkmcnt(0)
	s_mul_i32 s33, s22, s33
	s_mul_hi_u32 s48, s22, s47
	s_add_i32 s33, s48, s33
	s_mul_i32 s23, s23, s47
	s_add_i32 s33, s33, s23
	s_mul_i32 s22, s22, s47
	s_add_u32 s20, s22, s20
	s_addc_u32 s21, s33, s21
	s_add_u32 s44, s44, 1
	s_addc_u32 s45, s45, 0
	;; [unrolled: 2-line block ×4, first 2 shown]
	s_add_u32 s16, s16, 8
	v_cmp_ge_u64_e32 vcc, s[44:45], v[2:3]
	s_addc_u32 s17, s17, 0
	s_cbranch_vccnz .LBB0_10
; %bb.8:                                ;   in Loop: Header=BB0_4 Depth=1
	s_mov_b64 s[22:23], s[0:1]
	s_branch .LBB0_4
.LBB0_9:                                ;   in Loop: Header=BB0_4 Depth=1
                                        ; implicit-def: $sgpr0_sgpr1
	s_branch .LBB0_6
.LBB0_10:
	v_mov_b64_e32 v[2:3], s[34:35]
	v_cmp_lt_u64_e32 vcc, s[2:3], v[2:3]
	s_mov_b64 s[22:23], 0
	s_cbranch_vccnz .LBB0_12
; %bb.11:
	v_cvt_f32_u32_e32 v1, s34
	s_sub_i32 s0, 0, s34
	v_rcp_iflag_f32_e32 v1, v1
	s_nop 0
	v_mul_f32_e32 v1, 0x4f7ffffe, v1
	v_cvt_u32_f32_e32 v1, v1
	s_nop 0
	v_readfirstlane_b32 s1, v1
	s_mul_i32 s0, s0, s1
	s_mul_hi_u32 s0, s1, s0
	s_add_i32 s1, s1, s0
	s_mul_hi_u32 s0, s2, s1
	s_mul_i32 s3, s0, s34
	s_sub_i32 s2, s2, s3
	s_add_i32 s1, s0, 1
	s_sub_i32 s3, s2, s34
	s_cmp_ge_u32 s2, s34
	s_cselect_b32 s0, s1, s0
	s_cselect_b32 s2, s3, s2
	s_add_i32 s1, s0, 1
	s_cmp_ge_u32 s2, s34
	s_cselect_b32 s22, s1, s0
.LBB0_12:
	s_lshl_b64 s[2:3], s[38:39], 3
	s_add_u32 s46, s28, s2
	v_mul_u32_u24_e32 v1, 0x1746, v0
	s_addc_u32 s47, s29, s3
	v_lshrrev_b32_e32 v1, 16, v1
	s_mov_b32 s0, 0
	v_mul_lo_u16_e32 v2, 11, v1
	v_mov_b32_e32 v51, s0
	s_add_u32 s0, s36, 11
	v_sub_u16_e32 v50, v0, v2
	s_addc_u32 s1, s37, 0
	v_mov_b64_e32 v[2:3], s[26:27]
	v_cmp_le_u64_e32 vcc, s[0:1], v[2:3]
	v_lshl_add_u64 v[2:3], s[36:37], 0, v[50:51]
	v_cmp_gt_u64_e64 s[0:1], s[26:27], v[2:3]
	s_or_b64 s[44:45], vcc, s[0:1]
                                        ; implicit-def: $vgpr48_vgpr49
                                        ; implicit-def: $vgpr44_vgpr45
                                        ; implicit-def: $vgpr36_vgpr37
                                        ; implicit-def: $vgpr28_vgpr29
                                        ; implicit-def: $vgpr16_vgpr17
                                        ; implicit-def: $vgpr12_vgpr13
                                        ; implicit-def: $vgpr20_vgpr21
                                        ; implicit-def: $vgpr24_vgpr25
                                        ; implicit-def: $vgpr32_vgpr33
                                        ; implicit-def: $vgpr40_vgpr41
                                        ; implicit-def: $vgpr4_vgpr5
	s_and_saveexec_b64 s[0:1], s[44:45]
	s_cbranch_execz .LBB0_14
; %bb.13:
	s_add_u32 s2, s18, s2
	s_addc_u32 s3, s19, s3
	s_load_dwordx2 s[2:3], s[2:3], 0x0
	v_mad_u64_u32 v[2:3], s[16:17], s14, v50, 0
	v_mov_b32_e32 v4, v3
	v_add_u32_e32 v13, 33, v1
	s_waitcnt lgkmcnt(0)
	s_mul_i32 s3, s3, s22
	s_mul_hi_u32 s14, s2, s22
	s_mul_i32 s2, s2, s22
	s_add_i32 s3, s14, s3
	s_lshl_b64 s[2:3], s[2:3], 4
	v_mad_u64_u32 v[4:5], s[14:15], s15, v50, v[4:5]
	s_add_u32 s8, s8, s2
	v_mov_b32_e32 v3, v4
	v_mad_u64_u32 v[4:5], s[14:15], s12, v1, 0
	s_addc_u32 s9, s9, s3
	s_lshl_b64 s[2:3], s[30:31], 4
	v_mov_b32_e32 v6, v5
	s_add_u32 s2, s8, s2
	v_mad_u64_u32 v[6:7], s[14:15], s13, v1, v[6:7]
	s_addc_u32 s3, s9, s3
	v_mov_b32_e32 v5, v6
	v_lshl_add_u64 v[6:7], v[2:3], 4, s[2:3]
	v_lshl_add_u64 v[8:9], v[4:5], 4, v[6:7]
	v_add_u32_e32 v5, 11, v1
	v_mad_u64_u32 v[2:3], s[2:3], s12, v5, 0
	v_mov_b32_e32 v4, v3
	v_mad_u64_u32 v[4:5], s[2:3], s13, v5, v[4:5]
	v_mov_b32_e32 v3, v4
	v_lshl_add_u64 v[10:11], v[2:3], 4, v[6:7]
	global_load_dwordx4 v[2:5], v[8:9], off
	global_load_dwordx4 v[38:41], v[10:11], off
	v_add_u32_e32 v11, 22, v1
	v_mad_u64_u32 v[8:9], s[2:3], s12, v11, 0
	v_mov_b32_e32 v10, v9
	v_mad_u64_u32 v[10:11], s[2:3], s13, v11, v[10:11]
	v_mov_b32_e32 v9, v10
	;; [unrolled: 2-line block ×4, first 2 shown]
	v_lshl_add_u64 v[8:9], v[8:9], 4, v[6:7]
	v_lshl_add_u64 v[10:11], v[10:11], 4, v[6:7]
	global_load_dwordx4 v[30:33], v[8:9], off
	global_load_dwordx4 v[22:25], v[10:11], off
	v_add_u32_e32 v11, 44, v1
	v_mad_u64_u32 v[8:9], s[2:3], s12, v11, 0
	v_mov_b32_e32 v10, v9
	v_mad_u64_u32 v[10:11], s[2:3], s13, v11, v[10:11]
	v_add_u32_e32 v13, 55, v1
	v_mov_b32_e32 v9, v10
	v_mad_u64_u32 v[10:11], s[2:3], s12, v13, 0
	v_mov_b32_e32 v12, v11
	v_mad_u64_u32 v[12:13], s[2:3], s13, v13, v[12:13]
	v_mov_b32_e32 v11, v12
	v_lshl_add_u64 v[8:9], v[8:9], 4, v[6:7]
	v_lshl_add_u64 v[14:15], v[10:11], 4, v[6:7]
	global_load_dwordx4 v[18:21], v[8:9], off
	global_load_dwordx4 v[10:13], v[14:15], off
	v_add_u32_e32 v15, 0x42, v1
	v_mad_u64_u32 v[8:9], s[2:3], s12, v15, 0
	v_mov_b32_e32 v14, v9
	v_mad_u64_u32 v[14:15], s[2:3], s13, v15, v[14:15]
	v_add_u32_e32 v17, 0x4d, v1
	v_mov_b32_e32 v9, v14
	v_mad_u64_u32 v[14:15], s[2:3], s12, v17, 0
	v_mov_b32_e32 v16, v15
	v_mad_u64_u32 v[16:17], s[2:3], s13, v17, v[16:17]
	v_mov_b32_e32 v15, v16
	;; [unrolled: 14-line block ×3, first 2 shown]
	v_lshl_add_u64 v[8:9], v[8:9], 4, v[6:7]
	v_lshl_add_u64 v[46:47], v[34:35], 4, v[6:7]
	global_load_dwordx4 v[34:37], v[8:9], off
	global_load_dwordx4 v[42:45], v[46:47], off
	v_add_u32_e32 v47, 0x6e, v1
	v_mad_u64_u32 v[8:9], s[2:3], s12, v47, 0
	v_mov_b32_e32 v46, v9
	v_mad_u64_u32 v[46:47], s[2:3], s13, v47, v[46:47]
	v_mov_b32_e32 v9, v46
	v_lshl_add_u64 v[6:7], v[8:9], 4, v[6:7]
	global_load_dwordx4 v[46:49], v[6:7], off
.LBB0_14:
	s_or_b64 exec, exec, s[0:1]
	s_waitcnt vmcnt(9)
	v_add_f64 v[6:7], v[38:39], v[2:3]
	v_add_f64 v[8:9], v[40:41], v[4:5]
	s_waitcnt vmcnt(8)
	v_add_f64 v[6:7], v[30:31], v[6:7]
	v_add_f64 v[8:9], v[32:33], v[8:9]
	;; [unrolled: 3-line block ×8, first 2 shown]
	s_mov_b32 s0, 0x8764f0ba
	s_mov_b32 s8, 0xd9c712b6
	;; [unrolled: 1-line block ×5, first 2 shown]
	s_waitcnt vmcnt(1)
	v_add_f64 v[6:7], v[42:43], v[6:7]
	v_add_f64 v[8:9], v[44:45], v[8:9]
	s_waitcnt vmcnt(0)
	v_add_f64 v[58:59], v[46:47], v[38:39]
	s_mov_b32 s1, 0x3feaeb8c
	s_mov_b32 s2, 0xf8bb580b
	s_mov_b32 s9, 0x3fda9628
	s_mov_b32 s38, 0x8eee2c13
	s_mov_b32 s15, 0xbfc2375f
	s_mov_b32 s40, 0x43842ef
	s_mov_b32 s17, 0xbfe4f49e
	s_mov_b32 s42, 0xbb3a28a1
	s_mov_b32 s27, 0xbfeeb42a
	s_mov_b32 s36, 0xfd768dbf
	v_add_f64 v[6:7], v[46:47], v[6:7]
	v_add_f64 v[8:9], v[48:49], v[8:9]
	;; [unrolled: 1-line block ×3, first 2 shown]
	v_add_f64 v[54:55], v[38:39], -v[46:47]
	v_add_f64 v[56:57], v[40:41], -v[48:49]
	v_mul_f64 v[48:49], v[58:59], s[0:1]
	s_mov_b32 s3, 0x3fe14ced
	v_add_f64 v[46:47], v[42:43], v[30:31]
	v_add_f64 v[38:39], v[44:45], v[32:33]
	v_add_f64 v[40:41], v[30:31], -v[42:43]
	v_add_f64 v[30:31], v[32:33], -v[44:45]
	v_add_f64 v[42:43], v[34:35], v[22:23]
	v_add_f64 v[32:33], v[36:37], v[24:25]
	v_add_f64 v[34:35], v[22:23], -v[34:35]
	v_add_f64 v[22:23], v[24:25], -v[36:37]
	;; [unrolled: 4-line block ×4, first 2 shown]
	s_mov_b32 s13, 0xbfe14ced
	s_mov_b32 s12, s2
	v_mul_f64 v[16:17], v[58:59], s[8:9]
	s_mov_b32 s39, 0x3fed1bb4
	s_mov_b32 s19, 0xbfed1bb4
	;; [unrolled: 1-line block ×6, first 2 shown]
	v_mul_f64 v[60:61], v[58:59], s[14:15]
	s_mov_b32 s43, 0x3fe82f19
	s_mov_b32 s31, 0xbfe82f19
	;; [unrolled: 1-line block ×3, first 2 shown]
	v_mul_f64 v[64:65], v[58:59], s[16:17]
	v_mul_f64 v[58:59], v[58:59], s[26:27]
	s_mov_b32 s37, 0x3fd207e7
	s_mov_b32 s35, 0xbfd207e7
	;; [unrolled: 1-line block ×3, first 2 shown]
	v_fma_f64 v[12:13], s[2:3], v[56:57], v[48:49]
	v_fmac_f64_e32 v[48:49], s[12:13], v[56:57]
	v_fma_f64 v[44:45], s[38:39], v[56:57], v[16:17]
	v_fmac_f64_e32 v[16:17], s[18:19], v[56:57]
	;; [unrolled: 2-line block ×5, first 2 shown]
	v_mul_f64 v[56:57], v[54:55], s[12:13]
	v_mul_f64 v[72:73], v[54:55], s[18:19]
	v_fma_f64 v[70:71], s[0:1], v[52:53], v[56:57]
	v_fma_f64 v[74:75], s[8:9], v[52:53], v[72:73]
	v_mul_f64 v[76:77], v[54:55], s[28:29]
	v_mul_f64 v[80:81], v[54:55], s[30:31]
	;; [unrolled: 1-line block ×3, first 2 shown]
	v_fma_f64 v[56:57], v[52:53], s[0:1], -v[56:57]
	v_fma_f64 v[72:73], v[52:53], s[8:9], -v[72:73]
	v_fma_f64 v[78:79], s[14:15], v[52:53], v[76:77]
	v_fma_f64 v[76:77], v[52:53], s[14:15], -v[76:77]
	v_fma_f64 v[82:83], s[16:17], v[52:53], v[80:81]
	;; [unrolled: 2-line block ×3, first 2 shown]
	v_fma_f64 v[52:53], v[52:53], s[26:27], -v[54:55]
	v_add_f64 v[12:13], v[2:3], v[12:13]
	v_add_f64 v[54:55], v[4:5], v[70:71]
	;; [unrolled: 1-line block ×12, first 2 shown]
	v_mul_f64 v[2:3], v[46:47], s[8:9]
	v_add_f64 v[56:57], v[4:5], v[56:57]
	v_add_f64 v[72:73], v[4:5], v[72:73]
	;; [unrolled: 1-line block ×8, first 2 shown]
	v_fma_f64 v[4:5], s[38:39], v[30:31], v[2:3]
	v_add_f64 v[4:5], v[4:5], v[12:13]
	v_mul_f64 v[12:13], v[40:41], s[18:19]
	v_fma_f64 v[52:53], s[8:9], v[38:39], v[12:13]
	v_mul_f64 v[58:59], v[42:43], s[14:15]
	v_add_f64 v[52:53], v[52:53], v[54:55]
	v_fma_f64 v[54:55], s[40:41], v[22:23], v[58:59]
	v_mul_f64 v[60:61], v[34:35], s[28:29]
	v_add_f64 v[4:5], v[54:55], v[4:5]
	;; [unrolled: 3-line block ×4, first 2 shown]
	v_fma_f64 v[54:55], s[16:17], v[24:25], v[64:65]
	v_mul_f64 v[66:67], v[28:29], s[26:27]
	v_fmac_f64_e32 v[2:3], s[18:19], v[30:31]
	v_fma_f64 v[12:13], v[38:39], s[8:9], -v[12:13]
	v_add_f64 v[54:55], v[54:55], v[52:53]
	v_fma_f64 v[52:53], s[36:37], v[10:11], v[66:67]
	v_add_f64 v[2:3], v[2:3], v[48:49]
	v_add_f64 v[12:13], v[12:13], v[56:57]
	v_fma_f64 v[48:49], v[32:33], s[14:15], -v[60:61]
	v_add_f64 v[52:53], v[52:53], v[4:5]
	v_mul_f64 v[4:5], v[14:15], s[34:35]
	v_add_f64 v[12:13], v[48:49], v[12:13]
	v_fma_f64 v[48:49], v[24:25], s[16:17], -v[64:65]
	v_fma_f64 v[68:69], s[26:27], v[20:21], v[4:5]
	v_add_f64 v[12:13], v[48:49], v[12:13]
	v_fma_f64 v[4:5], v[20:21], s[26:27], -v[4:5]
	v_add_f64 v[4:5], v[4:5], v[12:13]
	v_mul_f64 v[12:13], v[46:47], s[16:17]
	v_fmac_f64_e32 v[58:59], s[28:29], v[22:23]
	v_fma_f64 v[48:49], s[42:43], v[30:31], v[12:13]
	v_add_f64 v[2:3], v[58:59], v[2:3]
	v_fmac_f64_e32 v[62:63], s[30:31], v[18:19]
	v_add_f64 v[44:45], v[48:49], v[44:45]
	v_mul_f64 v[48:49], v[40:41], s[30:31]
	v_mul_f64 v[60:61], v[42:43], s[26:27]
	v_add_f64 v[2:3], v[62:63], v[2:3]
	v_fma_f64 v[56:57], s[16:17], v[38:39], v[48:49]
	v_fma_f64 v[58:59], s[34:35], v[22:23], v[60:61]
	v_mul_f64 v[62:63], v[34:35], s[36:37]
	v_fmac_f64_e32 v[66:67], s[34:35], v[10:11]
	v_add_f64 v[56:57], v[56:57], v[70:71]
	v_add_f64 v[44:45], v[58:59], v[44:45]
	v_fma_f64 v[58:59], s[26:27], v[32:33], v[62:63]
	v_mul_f64 v[64:65], v[36:37], s[14:15]
	v_add_f64 v[2:3], v[66:67], v[2:3]
	v_add_f64 v[56:57], v[58:59], v[56:57]
	v_fma_f64 v[58:59], s[28:29], v[18:19], v[64:65]
	v_mul_f64 v[66:67], v[26:27], s[40:41]
	v_fmac_f64_e32 v[12:13], s[30:31], v[30:31]
	v_add_f64 v[54:55], v[68:69], v[54:55]
	v_add_f64 v[44:45], v[58:59], v[44:45]
	v_fma_f64 v[58:59], s[14:15], v[24:25], v[66:67]
	v_mul_f64 v[68:69], v[28:29], s[0:1]
	v_add_f64 v[12:13], v[12:13], v[16:17]
	v_fma_f64 v[16:17], v[38:39], s[16:17], -v[48:49]
	v_fmac_f64_e32 v[60:61], s[36:37], v[22:23]
	v_add_f64 v[58:59], v[58:59], v[56:57]
	v_fma_f64 v[56:57], s[12:13], v[10:11], v[68:69]
	v_add_f64 v[16:17], v[16:17], v[72:73]
	v_add_f64 v[12:13], v[60:61], v[12:13]
	v_fma_f64 v[48:49], v[32:33], s[26:27], -v[62:63]
	v_fmac_f64_e32 v[64:65], s[40:41], v[18:19]
	v_add_f64 v[56:57], v[56:57], v[44:45]
	v_mul_f64 v[44:45], v[14:15], s[2:3]
	v_add_f64 v[16:17], v[48:49], v[16:17]
	v_add_f64 v[12:13], v[64:65], v[12:13]
	v_fma_f64 v[48:49], v[24:25], s[14:15], -v[66:67]
	v_fmac_f64_e32 v[68:69], s[2:3], v[10:11]
	v_add_f64 v[16:17], v[48:49], v[16:17]
	v_add_f64 v[60:61], v[68:69], v[12:13]
	v_fma_f64 v[12:13], v[20:21], s[0:1], -v[44:45]
	v_add_f64 v[62:63], v[12:13], v[16:17]
	v_mul_f64 v[12:13], v[46:47], s[26:27]
	v_fma_f64 v[70:71], s[0:1], v[20:21], v[44:45]
	v_fma_f64 v[16:17], s[34:35], v[30:31], v[12:13]
	v_mul_f64 v[44:45], v[40:41], s[36:37]
	v_mul_f64 v[68:69], v[42:43], s[8:9]
	v_add_f64 v[58:59], v[70:71], v[58:59]
	v_add_f64 v[16:17], v[16:17], v[74:75]
	v_fma_f64 v[48:49], s[26:27], v[38:39], v[44:45]
	v_fma_f64 v[64:65], s[18:19], v[22:23], v[68:69]
	v_mul_f64 v[70:71], v[34:35], s[38:39]
	v_add_f64 v[48:49], v[48:49], v[78:79]
	v_add_f64 v[16:17], v[64:65], v[16:17]
	v_fma_f64 v[64:65], s[8:9], v[32:33], v[70:71]
	v_mul_f64 v[72:73], v[36:37], s[0:1]
	v_add_f64 v[48:49], v[64:65], v[48:49]
	v_fma_f64 v[64:65], s[2:3], v[18:19], v[72:73]
	v_mul_f64 v[74:75], v[26:27], s[12:13]
	;; [unrolled: 3-line block ×3, first 2 shown]
	v_add_f64 v[48:49], v[64:65], v[48:49]
	v_fma_f64 v[64:65], s[42:43], v[10:11], v[78:79]
	v_add_f64 v[64:65], v[64:65], v[16:17]
	v_mul_f64 v[16:17], v[14:15], s[30:31]
	v_fmac_f64_e32 v[12:13], s[36:37], v[30:31]
	v_fma_f64 v[66:67], s[16:17], v[20:21], v[16:17]
	v_add_f64 v[12:13], v[12:13], v[86:87]
	v_fma_f64 v[44:45], v[38:39], s[26:27], -v[44:45]
	v_fmac_f64_e32 v[68:69], s[38:39], v[22:23]
	v_add_f64 v[66:67], v[66:67], v[48:49]
	v_add_f64 v[44:45], v[44:45], v[76:77]
	;; [unrolled: 1-line block ×3, first 2 shown]
	v_fma_f64 v[48:49], v[32:33], s[8:9], -v[70:71]
	v_fmac_f64_e32 v[72:73], s[12:13], v[18:19]
	v_add_f64 v[44:45], v[48:49], v[44:45]
	v_add_f64 v[12:13], v[72:73], v[12:13]
	v_fma_f64 v[48:49], v[24:25], s[0:1], -v[74:75]
	v_fmac_f64_e32 v[78:79], s[30:31], v[10:11]
	v_add_f64 v[44:45], v[48:49], v[44:45]
	v_add_f64 v[68:69], v[78:79], v[12:13]
	v_fma_f64 v[12:13], v[20:21], s[16:17], -v[16:17]
	v_add_f64 v[70:71], v[12:13], v[44:45]
	v_mul_f64 v[12:13], v[46:47], s[14:15]
	v_fma_f64 v[16:17], s[28:29], v[30:31], v[12:13]
	v_mul_f64 v[44:45], v[40:41], s[40:41]
	v_mul_f64 v[76:77], v[42:43], s[0:1]
	v_add_f64 v[16:17], v[16:17], v[88:89]
	v_fma_f64 v[48:49], s[14:15], v[38:39], v[44:45]
	v_fma_f64 v[72:73], s[2:3], v[22:23], v[76:77]
	v_mul_f64 v[78:79], v[34:35], s[12:13]
	v_add_f64 v[48:49], v[48:49], v[82:83]
	v_add_f64 v[16:17], v[72:73], v[16:17]
	v_fma_f64 v[72:73], s[0:1], v[32:33], v[78:79]
	v_mul_f64 v[82:83], v[36:37], s[26:27]
	v_add_f64 v[48:49], v[72:73], v[48:49]
	v_fma_f64 v[72:73], s[36:37], v[18:19], v[82:83]
	v_mul_f64 v[86:87], v[26:27], s[34:35]
	;; [unrolled: 3-line block ×4, first 2 shown]
	v_add_f64 v[72:73], v[72:73], v[16:17]
	v_fma_f64 v[16:17], s[8:9], v[20:21], v[98:99]
	v_add_f64 v[74:75], v[16:17], v[48:49]
	v_fma_f64 v[16:17], v[38:39], s[14:15], -v[44:45]
	v_mul_f64 v[40:41], v[40:41], s[2:3]
	v_add_f64 v[16:17], v[16:17], v[80:81]
	v_mul_f64 v[44:45], v[46:47], s[0:1]
	v_fma_f64 v[48:49], s[0:1], v[38:39], v[40:41]
	v_fma_f64 v[38:39], v[38:39], s[0:1], -v[40:41]
	v_fma_f64 v[40:41], v[32:33], s[0:1], -v[78:79]
	v_fma_f64 v[46:47], s[12:13], v[30:31], v[44:45]
	v_fmac_f64_e32 v[44:45], s[2:3], v[30:31]
	v_add_f64 v[16:17], v[40:41], v[16:17]
	v_mul_f64 v[40:41], v[42:43], s[16:17]
	v_fmac_f64_e32 v[12:13], s[40:41], v[30:31]
	v_add_f64 v[30:31], v[44:45], v[94:95]
	v_fma_f64 v[42:43], s[42:43], v[22:23], v[40:41]
	v_mul_f64 v[34:35], v[34:35], s[30:31]
	v_fmac_f64_e32 v[40:41], s[30:31], v[22:23]
	v_fmac_f64_e32 v[76:77], s[12:13], v[22:23]
	v_fma_f64 v[44:45], s[16:17], v[32:33], v[34:35]
	v_add_f64 v[22:23], v[40:41], v[30:31]
	v_fma_f64 v[30:31], v[32:33], s[16:17], -v[34:35]
	v_fma_f64 v[32:33], v[24:25], s[26:27], -v[86:87]
	v_add_f64 v[12:13], v[12:13], v[90:91]
	v_add_f64 v[32:33], v[32:33], v[16:17]
	v_mul_f64 v[16:17], v[36:37], s[8:9]
	v_add_f64 v[38:39], v[38:39], v[96:97]
	v_add_f64 v[12:13], v[76:77], v[12:13]
	v_fmac_f64_e32 v[82:83], s[34:35], v[18:19]
	v_fma_f64 v[34:35], s[18:19], v[18:19], v[16:17]
	v_mul_f64 v[26:27], v[26:27], s[38:39]
	v_fmac_f64_e32 v[16:17], s[38:39], v[18:19]
	v_add_f64 v[30:31], v[30:31], v[38:39]
	v_add_f64 v[12:13], v[82:83], v[12:13]
	;; [unrolled: 1-line block ×3, first 2 shown]
	v_fma_f64 v[16:17], v[24:25], s[8:9], -v[26:27]
	v_fmac_f64_e32 v[88:89], s[38:39], v[10:11]
	v_fma_f64 v[36:37], s[8:9], v[24:25], v[26:27]
	v_add_f64 v[26:27], v[16:17], v[30:31]
	s_load_dwordx2 s[46:47], s[46:47], 0x0
	v_add_f64 v[16:17], v[88:89], v[12:13]
	v_fma_f64 v[12:13], v[20:21], s[8:9], -v[98:99]
	v_add_f64 v[18:19], v[12:13], v[32:33]
	v_mul_f64 v[12:13], v[28:29], s[14:15]
	v_add_f64 v[46:47], v[46:47], v[92:93]
	v_add_f64 v[48:49], v[48:49], v[84:85]
	v_fma_f64 v[22:23], s[40:41], v[10:11], v[12:13]
	v_mul_f64 v[14:15], v[14:15], s[28:29]
	v_fmac_f64_e32 v[12:13], s[28:29], v[10:11]
	s_movk_i32 s23, 0x790
	v_add_f64 v[42:43], v[42:43], v[46:47]
	v_add_f64 v[44:45], v[44:45], v[48:49]
	v_fma_f64 v[24:25], s[14:15], v[20:21], v[14:15]
	v_add_f64 v[10:11], v[12:13], v[38:39]
	v_fma_f64 v[12:13], v[20:21], s[14:15], -v[14:15]
	v_mad_u32_u24 v14, v1, s23, 0
	v_add_f64 v[34:35], v[34:35], v[42:43]
	v_add_f64 v[36:37], v[36:37], v[44:45]
	v_lshl_add_u32 v15, v50, 4, v14
	v_add_f64 v[22:23], v[22:23], v[34:35]
	v_add_f64 v[24:25], v[24:25], v[36:37]
	v_add_f64 v[12:13], v[12:13], v[26:27]
	ds_write_b128 v15, v[6:9]
	ds_write_b128 v15, v[52:55] offset:176
	ds_write_b128 v15, v[56:59] offset:352
	;; [unrolled: 1-line block ×10, first 2 shown]
	s_waitcnt lgkmcnt(0)
	s_barrier
	s_and_saveexec_b64 s[48:49], s[44:45]
	s_cbranch_execz .LBB0_16
; %bb.15:
	v_mul_lo_u16_e32 v2, 24, v1
	v_mov_b32_e32 v3, 11
	v_mul_lo_u16_sdwa v2, v2, v3 dst_sel:DWORD dst_unused:UNUSED_PAD src0_sel:BYTE_1 src1_sel:DWORD
	v_sub_u16_e32 v51, v1, v2
	v_mov_b32_e32 v2, 10
	v_mul_u32_u24_sdwa v2, v51, v2 dst_sel:DWORD dst_unused:UNUSED_PAD src0_sel:BYTE_0 src1_sel:DWORD
	v_lshlrev_b32_e32 v6, 4, v2
	global_load_dwordx4 v[10:13], v6, s[24:25] offset:64
	global_load_dwordx4 v[2:5], v6, s[24:25] offset:80
	;; [unrolled: 1-line block ×8, first 2 shown]
	global_load_dwordx4 v[74:77], v6, s[24:25]
	global_load_dwordx4 v[78:81], v6, s[24:25] offset:144
	v_mul_i32_i24_e32 v1, 0xfffff920, v1
	v_lshlrev_b32_e32 v6, 4, v50
	v_add3_u32 v1, v14, v1, v6
	ds_read_b128 v[54:57], v1 offset:9680
	ds_read_b128 v[60:63], v1 offset:7744
	;; [unrolled: 1-line block ×8, first 2 shown]
	ds_read_b128 v[6:9], v1
	ds_read_b128 v[106:109], v1 offset:1936
	ds_read_b128 v[110:113], v1 offset:19360
	s_waitcnt vmcnt(9) lgkmcnt(10)
	v_mul_f64 v[34:35], v[54:55], v[12:13]
	s_waitcnt vmcnt(8) lgkmcnt(8)
	v_mul_f64 v[36:37], v[82:83], v[4:5]
	s_waitcnt vmcnt(7)
	v_mul_f64 v[40:41], v[60:61], v[18:19]
	s_waitcnt vmcnt(6) lgkmcnt(7)
	v_mul_f64 v[38:39], v[86:87], v[22:23]
	v_mul_f64 v[14:15], v[62:63], v[18:19]
	;; [unrolled: 1-line block ×3, first 2 shown]
	s_waitcnt vmcnt(5) lgkmcnt(6)
	v_mul_f64 v[46:47], v[90:91], v[26:27]
	s_waitcnt vmcnt(4) lgkmcnt(4)
	v_mul_f64 v[42:43], v[98:99], v[30:31]
	;; [unrolled: 2-line block ×4, first 2 shown]
	v_mul_f64 v[22:23], v[92:93], v[26:27]
	v_mul_f64 v[26:27], v[100:101], v[30:31]
	;; [unrolled: 1-line block ×8, first 2 shown]
	v_fmac_f64_e32 v[58:59], v[108:109], v[74:75]
	v_fmac_f64_e32 v[52:53], v[112:113], v[78:79]
	;; [unrolled: 1-line block ×4, first 2 shown]
	v_fma_f64 v[72:73], v[94:95], v[66:67], -v[30:31]
	v_fma_f64 v[66:67], v[102:103], v[70:71], -v[32:33]
	;; [unrolled: 1-line block ×4, first 2 shown]
	v_add_f64 v[108:109], v[58:59], v[52:53]
	v_fmac_f64_e32 v[40:41], v[62:63], v[16:17]
	v_fma_f64 v[62:63], v[60:61], v[16:17], -v[14:15]
	v_fma_f64 v[60:61], v[86:87], v[20:21], -v[18:19]
	v_fmac_f64_e32 v[46:47], v[92:93], v[24:25]
	v_fmac_f64_e32 v[42:43], v[100:101], v[28:29]
	v_add_f64 v[106:107], v[48:49], v[44:45]
	v_add_f64 v[76:77], v[74:75], -v[70:71]
	v_mul_f64 v[18:19], v[108:109], s[26:27]
	v_mul_f64 v[4:5], v[84:85], v[4:5]
	v_fmac_f64_e32 v[36:37], v[84:85], v[2:3]
	v_fmac_f64_e32 v[38:39], v[88:89], v[20:21]
	v_fma_f64 v[68:69], v[90:91], v[24:25], -v[22:23]
	v_fma_f64 v[64:65], v[98:99], v[28:29], -v[26:27]
	v_add_f64 v[102:103], v[46:47], v[42:43]
	v_add_f64 v[84:85], v[72:73], -v[66:67]
	v_mul_f64 v[16:17], v[106:107], s[0:1]
	v_fma_f64 v[24:25], s[36:37], v[76:77], v[18:19]
	v_mul_f64 v[12:13], v[56:57], v[12:13]
	v_fmac_f64_e32 v[34:35], v[56:57], v[10:11]
	v_fma_f64 v[56:57], v[82:83], v[2:3], -v[4:5]
	v_add_f64 v[100:101], v[40:41], v[38:39]
	v_add_f64 v[82:83], v[68:69], -v[64:65]
	v_mul_f64 v[14:15], v[102:103], s[16:17]
	v_fma_f64 v[22:23], s[12:13], v[84:85], v[16:17]
	v_add_f64 v[24:25], v[8:9], v[24:25]
	v_fma_f64 v[54:55], v[54:55], v[10:11], -v[12:13]
	v_add_f64 v[90:91], v[34:35], v[36:37]
	v_add_f64 v[80:81], v[62:63], -v[60:61]
	v_mul_f64 v[12:13], v[100:101], s[8:9]
	v_fma_f64 v[20:21], s[42:43], v[82:83], v[14:15]
	v_add_f64 v[22:23], v[22:23], v[24:25]
	v_add_f64 v[114:115], v[58:59], -v[52:53]
	v_add_f64 v[78:79], v[54:55], -v[56:57]
	v_mul_f64 v[10:11], v[90:91], s[14:15]
	v_fma_f64 v[4:5], s[18:19], v[80:81], v[12:13]
	v_add_f64 v[20:21], v[20:21], v[22:23]
	v_add_f64 v[112:113], v[48:49], -v[44:45]
	v_add_f64 v[96:97], v[74:75], v[70:71]
	v_mul_f64 v[28:29], v[114:115], s[34:35]
	v_fmac_f64_e32 v[18:19], s[34:35], v[76:77]
	v_fma_f64 v[2:3], s[40:41], v[78:79], v[10:11]
	v_add_f64 v[4:5], v[4:5], v[20:21]
	v_add_f64 v[110:111], v[46:47], -v[42:43]
	v_add_f64 v[94:95], v[72:73], v[66:67]
	v_mul_f64 v[26:27], v[112:113], s[2:3]
	v_fma_f64 v[30:31], s[26:27], v[96:97], v[28:29]
	v_fmac_f64_e32 v[16:17], s[2:3], v[84:85]
	v_add_f64 v[18:19], v[8:9], v[18:19]
	v_add_f64 v[4:5], v[2:3], v[4:5]
	v_add_f64 v[104:105], v[40:41], -v[38:39]
	v_add_f64 v[92:93], v[68:69], v[64:65]
	v_mul_f64 v[24:25], v[110:111], s[30:31]
	v_fma_f64 v[2:3], s[0:1], v[94:95], v[26:27]
	v_add_f64 v[30:31], v[6:7], v[30:31]
	v_fmac_f64_e32 v[14:15], s[30:31], v[82:83]
	v_add_f64 v[16:17], v[16:17], v[18:19]
	v_add_f64 v[98:99], v[34:35], -v[36:37]
	v_add_f64 v[88:89], v[62:63], v[60:61]
	v_mul_f64 v[22:23], v[104:105], s[38:39]
	v_add_f64 v[2:3], v[2:3], v[30:31]
	v_fma_f64 v[30:31], s[16:17], v[92:93], v[24:25]
	v_fmac_f64_e32 v[12:13], s[38:39], v[80:81]
	v_add_f64 v[14:15], v[14:15], v[16:17]
	v_add_f64 v[86:87], v[54:55], v[56:57]
	v_mul_f64 v[20:21], v[98:99], s[28:29]
	v_add_f64 v[2:3], v[30:31], v[2:3]
	v_fma_f64 v[30:31], s[8:9], v[88:89], v[22:23]
	v_fmac_f64_e32 v[10:11], s[28:29], v[78:79]
	v_add_f64 v[12:13], v[12:13], v[14:15]
	v_add_f64 v[2:3], v[30:31], v[2:3]
	v_fma_f64 v[30:31], s[14:15], v[86:87], v[20:21]
	v_add_f64 v[12:13], v[10:11], v[12:13]
	v_fma_f64 v[10:11], v[86:87], s[14:15], -v[20:21]
	v_fma_f64 v[20:21], v[96:97], s[26:27], -v[28:29]
	;; [unrolled: 1-line block ×3, first 2 shown]
	v_add_f64 v[20:21], v[6:7], v[20:21]
	v_mul_f64 v[26:27], v[108:109], s[16:17]
	v_fma_f64 v[14:15], v[88:89], s[8:9], -v[22:23]
	v_fma_f64 v[16:17], v[92:93], s[16:17], -v[24:25]
	v_add_f64 v[18:19], v[18:19], v[20:21]
	v_mul_f64 v[22:23], v[106:107], s[14:15]
	v_fma_f64 v[28:29], s[42:43], v[76:77], v[26:27]
	v_add_f64 v[16:17], v[16:17], v[18:19]
	v_mul_f64 v[20:21], v[102:103], s[0:1]
	v_fma_f64 v[24:25], s[28:29], v[84:85], v[22:23]
	v_add_f64 v[28:29], v[8:9], v[28:29]
	v_add_f64 v[2:3], v[30:31], v[2:3]
	;; [unrolled: 1-line block ×3, first 2 shown]
	v_mul_f64 v[18:19], v[100:101], s[26:27]
	v_fma_f64 v[16:17], s[2:3], v[82:83], v[20:21]
	v_add_f64 v[24:25], v[24:25], v[28:29]
	v_mul_f64 v[30:31], v[114:115], s[30:31]
	v_add_f64 v[10:11], v[10:11], v[14:15]
	v_fma_f64 v[14:15], s[36:37], v[80:81], v[18:19]
	v_add_f64 v[16:17], v[16:17], v[24:25]
	v_mul_f64 v[28:29], v[112:113], s[40:41]
	v_fma_f64 v[32:33], s[16:17], v[96:97], v[30:31]
	v_fmac_f64_e32 v[26:27], s[30:31], v[76:77]
	v_add_f64 v[14:15], v[14:15], v[16:17]
	v_mul_f64 v[24:25], v[110:111], s[12:13]
	v_fma_f64 v[16:17], s[14:15], v[94:95], v[28:29]
	v_add_f64 v[32:33], v[6:7], v[32:33]
	v_fmac_f64_e32 v[22:23], s[40:41], v[84:85]
	v_add_f64 v[26:27], v[8:9], v[26:27]
	v_add_f64 v[16:17], v[16:17], v[32:33]
	v_fma_f64 v[32:33], s[0:1], v[92:93], v[24:25]
	v_add_f64 v[22:23], v[22:23], v[26:27]
	v_fma_f64 v[26:27], v[94:95], s[14:15], -v[28:29]
	v_fma_f64 v[28:29], v[96:97], s[16:17], -v[30:31]
	v_add_f64 v[16:17], v[32:33], v[16:17]
	v_mul_f64 v[32:33], v[104:105], s[34:35]
	v_fmac_f64_e32 v[20:21], s[12:13], v[82:83]
	v_add_f64 v[28:29], v[6:7], v[28:29]
	v_fma_f64 v[116:117], s[26:27], v[88:89], v[32:33]
	v_mul_f64 v[118:119], v[90:91], s[8:9]
	v_add_f64 v[20:21], v[20:21], v[22:23]
	v_fmac_f64_e32 v[18:19], s[34:35], v[80:81]
	v_fma_f64 v[24:25], v[92:93], s[0:1], -v[24:25]
	v_add_f64 v[26:27], v[26:27], v[28:29]
	v_add_f64 v[116:117], v[116:117], v[16:17]
	v_fma_f64 v[16:17], s[18:19], v[78:79], v[118:119]
	v_mul_f64 v[120:121], v[98:99], s[38:39]
	v_fmac_f64_e32 v[118:119], s[38:39], v[78:79]
	v_add_f64 v[18:19], v[18:19], v[20:21]
	v_fma_f64 v[22:23], v[88:89], s[26:27], -v[32:33]
	v_add_f64 v[24:25], v[24:25], v[26:27]
	v_mul_f64 v[32:33], v[108:109], s[14:15]
	v_add_f64 v[20:21], v[118:119], v[18:19]
	v_fma_f64 v[18:19], v[86:87], s[8:9], -v[120:121]
	v_add_f64 v[22:23], v[22:23], v[24:25]
	v_mul_f64 v[30:31], v[106:107], s[26:27]
	v_fma_f64 v[24:25], s[40:41], v[76:77], v[32:33]
	v_add_f64 v[18:19], v[18:19], v[22:23]
	v_mul_f64 v[28:29], v[102:103], s[8:9]
	v_fma_f64 v[22:23], s[34:35], v[84:85], v[30:31]
	v_add_f64 v[24:25], v[8:9], v[24:25]
	v_add_f64 v[16:17], v[16:17], v[14:15]
	v_fma_f64 v[14:15], s[8:9], v[86:87], v[120:121]
	v_mul_f64 v[26:27], v[100:101], s[0:1]
	v_add_f64 v[22:23], v[22:23], v[24:25]
	v_fma_f64 v[24:25], s[18:19], v[82:83], v[28:29]
	v_add_f64 v[14:15], v[14:15], v[116:117]
	v_add_f64 v[22:23], v[24:25], v[22:23]
	v_fma_f64 v[24:25], s[2:3], v[80:81], v[26:27]
	v_mul_f64 v[116:117], v[114:115], s[28:29]
	v_add_f64 v[22:23], v[24:25], v[22:23]
	v_fma_f64 v[24:25], s[14:15], v[96:97], v[116:117]
	v_mul_f64 v[118:119], v[112:113], s[36:37]
	v_fmac_f64_e32 v[32:33], s[28:29], v[76:77]
	v_add_f64 v[24:25], v[6:7], v[24:25]
	v_fma_f64 v[120:121], s[26:27], v[94:95], v[118:119]
	v_fmac_f64_e32 v[30:31], s[36:37], v[84:85]
	v_add_f64 v[32:33], v[8:9], v[32:33]
	v_add_f64 v[24:25], v[120:121], v[24:25]
	v_mul_f64 v[120:121], v[110:111], s[38:39]
	v_add_f64 v[30:31], v[30:31], v[32:33]
	v_fmac_f64_e32 v[28:29], s[38:39], v[82:83]
	v_fma_f64 v[122:123], s[8:9], v[92:93], v[120:121]
	v_add_f64 v[28:29], v[28:29], v[30:31]
	v_fmac_f64_e32 v[26:27], s[12:13], v[80:81]
	v_fma_f64 v[30:31], v[96:97], s[14:15], -v[116:117]
	v_add_f64 v[24:25], v[122:123], v[24:25]
	v_mul_f64 v[122:123], v[104:105], s[12:13]
	v_add_f64 v[26:27], v[26:27], v[28:29]
	v_fma_f64 v[28:29], v[94:95], s[26:27], -v[118:119]
	v_add_f64 v[30:31], v[6:7], v[30:31]
	v_fma_f64 v[124:125], s[0:1], v[88:89], v[122:123]
	v_mul_f64 v[126:127], v[90:91], s[16:17]
	v_add_f64 v[28:29], v[28:29], v[30:31]
	v_fma_f64 v[30:31], v[92:93], s[8:9], -v[120:121]
	v_add_f64 v[124:125], v[124:125], v[24:25]
	v_fma_f64 v[24:25], s[42:43], v[78:79], v[126:127]
	v_mul_f64 v[128:129], v[98:99], s[30:31]
	v_add_f64 v[28:29], v[30:31], v[28:29]
	v_fma_f64 v[30:31], v[88:89], s[0:1], -v[122:123]
	v_fmac_f64_e32 v[126:127], s[30:31], v[78:79]
	v_add_f64 v[28:29], v[30:31], v[28:29]
	v_add_f64 v[32:33], v[126:127], v[26:27]
	v_fma_f64 v[26:27], v[86:87], s[16:17], -v[128:129]
	v_mul_f64 v[116:117], v[108:109], s[8:9]
	v_add_f64 v[30:31], v[26:27], v[28:29]
	v_fma_f64 v[26:27], s[38:39], v[76:77], v[116:117]
	v_mul_f64 v[118:119], v[106:107], s[16:17]
	v_add_f64 v[26:27], v[8:9], v[26:27]
	v_fma_f64 v[28:29], s[42:43], v[84:85], v[118:119]
	;; [unrolled: 3-line block ×3, first 2 shown]
	v_add_f64 v[26:27], v[28:29], v[26:27]
	v_fma_f64 v[28:29], s[34:35], v[82:83], v[120:121]
	v_mul_f64 v[122:123], v[100:101], s[14:15]
	v_add_f64 v[22:23], v[22:23], v[124:125]
	v_add_f64 v[26:27], v[28:29], v[26:27]
	v_fma_f64 v[28:29], s[28:29], v[80:81], v[122:123]
	v_mul_f64 v[124:125], v[114:115], s[18:19]
	v_add_f64 v[26:27], v[28:29], v[26:27]
	v_fma_f64 v[28:29], s[8:9], v[96:97], v[124:125]
	v_mul_f64 v[126:127], v[112:113], s[30:31]
	v_fmac_f64_e32 v[116:117], s[18:19], v[76:77]
	v_add_f64 v[28:29], v[6:7], v[28:29]
	v_fma_f64 v[128:129], s[16:17], v[94:95], v[126:127]
	v_fmac_f64_e32 v[118:119], s[30:31], v[84:85]
	v_add_f64 v[116:117], v[8:9], v[116:117]
	v_add_f64 v[28:29], v[128:129], v[28:29]
	v_mul_f64 v[128:129], v[110:111], s[36:37]
	v_add_f64 v[116:117], v[118:119], v[116:117]
	v_fmac_f64_e32 v[120:121], s[36:37], v[82:83]
	v_fma_f64 v[130:131], s[26:27], v[92:93], v[128:129]
	v_add_f64 v[116:117], v[120:121], v[116:117]
	v_fma_f64 v[120:121], v[96:97], s[8:9], -v[124:125]
	v_add_f64 v[28:29], v[130:131], v[28:29]
	v_mul_f64 v[130:131], v[104:105], s[40:41]
	v_fma_f64 v[118:119], v[94:95], s[16:17], -v[126:127]
	v_add_f64 v[120:121], v[6:7], v[120:121]
	v_fma_f64 v[132:133], s[14:15], v[88:89], v[130:131]
	v_mul_f64 v[134:135], v[90:91], s[0:1]
	v_fmac_f64_e32 v[122:123], s[40:41], v[80:81]
	v_add_f64 v[118:119], v[118:119], v[120:121]
	v_fma_f64 v[120:121], v[92:93], s[26:27], -v[128:129]
	v_add_f64 v[132:133], v[132:133], v[28:29]
	v_fma_f64 v[28:29], s[12:13], v[78:79], v[134:135]
	v_mul_f64 v[136:137], v[98:99], s[2:3]
	v_add_f64 v[116:117], v[122:123], v[116:117]
	v_add_f64 v[118:119], v[120:121], v[118:119]
	v_fma_f64 v[120:121], v[88:89], s[14:15], -v[130:131]
	v_fmac_f64_e32 v[134:135], s[2:3], v[78:79]
	v_add_f64 v[120:121], v[120:121], v[118:119]
	v_add_f64 v[118:119], v[134:135], v[116:117]
	v_fma_f64 v[116:117], v[86:87], s[0:1], -v[136:137]
	v_mul_f64 v[108:109], v[108:109], s[0:1]
	v_add_f64 v[116:117], v[116:117], v[120:121]
	v_mul_f64 v[106:107], v[106:107], s[8:9]
	v_fma_f64 v[120:121], s[2:3], v[76:77], v[108:109]
	v_add_f64 v[120:121], v[8:9], v[120:121]
	v_fma_f64 v[122:123], s[38:39], v[84:85], v[106:107]
	v_mul_f64 v[102:103], v[102:103], s[14:15]
	v_add_f64 v[120:121], v[122:123], v[120:121]
	v_fma_f64 v[122:123], s[40:41], v[82:83], v[102:103]
	v_add_f64 v[120:121], v[122:123], v[120:121]
	v_mul_f64 v[122:123], v[100:101], s[16:17]
	v_fma_f64 v[100:101], s[42:43], v[80:81], v[122:123]
	v_mul_f64 v[114:115], v[114:115], s[12:13]
	v_add_f64 v[100:101], v[100:101], v[120:121]
	v_mul_f64 v[112:113], v[112:113], s[18:19]
	v_fma_f64 v[120:121], s[0:1], v[96:97], v[114:115]
	v_add_f64 v[120:121], v[6:7], v[120:121]
	v_fma_f64 v[124:125], s[8:9], v[94:95], v[112:113]
	v_mul_f64 v[110:111], v[110:111], s[28:29]
	v_fmac_f64_e32 v[108:109], s[12:13], v[76:77]
	v_add_f64 v[120:121], v[124:125], v[120:121]
	v_fma_f64 v[124:125], s[14:15], v[92:93], v[110:111]
	v_mul_f64 v[104:105], v[104:105], s[30:31]
	v_fmac_f64_e32 v[106:107], s[18:19], v[84:85]
	v_add_f64 v[76:77], v[8:9], v[108:109]
	v_add_f64 v[8:9], v[8:9], v[58:59]
	;; [unrolled: 1-line block ×3, first 2 shown]
	v_fma_f64 v[124:125], s[16:17], v[88:89], v[104:105]
	v_mul_f64 v[90:91], v[90:91], s[26:27]
	v_fmac_f64_e32 v[102:103], s[28:29], v[82:83]
	v_add_f64 v[76:77], v[106:107], v[76:77]
	v_add_f64 v[8:9], v[8:9], v[48:49]
	;; [unrolled: 1-line block ×3, first 2 shown]
	v_fma_f64 v[124:125], s[36:37], v[78:79], v[90:91]
	v_fmac_f64_e32 v[122:123], s[30:31], v[80:81]
	v_add_f64 v[76:77], v[102:103], v[76:77]
	v_add_f64 v[8:9], v[8:9], v[46:47]
	;; [unrolled: 1-line block ×3, first 2 shown]
	v_mul_f64 v[124:125], v[98:99], s[34:35]
	v_fmac_f64_e32 v[90:91], s[34:35], v[78:79]
	v_add_f64 v[76:77], v[122:123], v[76:77]
	v_add_f64 v[8:9], v[8:9], v[40:41]
	;; [unrolled: 1-line block ×3, first 2 shown]
	v_fma_f64 v[26:27], s[0:1], v[86:87], v[136:137]
	v_fma_f64 v[98:99], s[26:27], v[86:87], v[124:125]
	v_add_f64 v[78:79], v[90:91], v[76:77]
	v_fma_f64 v[76:77], v[86:87], s[26:27], -v[124:125]
	v_fma_f64 v[86:87], v[96:97], s[0:1], -v[114:115]
	v_add_f64 v[8:9], v[8:9], v[34:35]
	v_mad_u64_u32 v[34:35], s[0:1], s6, v50, 0
	v_add_f64 v[8:9], v[8:9], v[36:37]
	v_mov_b32_e32 v36, v35
	v_mad_u64_u32 v[36:37], s[0:1], s7, v50, v[36:37]
	s_movk_i32 s0, 0x21e
	s_nop 0
	v_mul_u32_u24_sdwa v1, v0, s0 dst_sel:DWORD dst_unused:UNUSED_PAD src0_sel:WORD_0 src1_sel:DWORD
	s_movk_i32 s0, 0x79
	v_mul_lo_u16_sdwa v1, v1, s0 dst_sel:DWORD dst_unused:UNUSED_PAD src0_sel:WORD_1 src1_sel:DWORD
	v_sub_u16_e32 v1, v0, v1
	v_sub_u32_e32 v0, v0, v1
	v_add_f64 v[8:9], v[8:9], v[38:39]
	v_add_u32_sdwa v38, v0, v51 dst_sel:DWORD dst_unused:UNUSED_PAD src0_sel:DWORD src1_sel:BYTE_0
	v_add_f64 v[86:87], v[6:7], v[86:87]
	v_add_f64 v[6:7], v[6:7], v[74:75]
	v_mad_u64_u32 v[0:1], s[0:1], s4, v38, 0
	s_mul_i32 s2, s47, s22
	s_mul_hi_u32 s3, s46, s22
	v_add_f64 v[6:7], v[6:7], v[72:73]
	v_mov_b32_e32 v35, v36
	v_mov_b32_e32 v36, v1
	s_add_i32 s3, s3, s2
	s_mul_i32 s2, s46, s22
	v_add_f64 v[6:7], v[6:7], v[68:69]
	v_mad_u64_u32 v[36:37], s[0:1], s5, v38, v[36:37]
	v_add_f64 v[6:7], v[6:7], v[62:63]
	s_lshl_b64 s[0:1], s[2:3], 4
	v_add_f64 v[6:7], v[6:7], v[54:55]
	s_add_u32 s2, s10, s0
	v_add_f64 v[6:7], v[6:7], v[56:57]
	s_addc_u32 s3, s11, s1
	s_lshl_b64 s[0:1], s[20:21], 4
	v_add_f64 v[6:7], v[6:7], v[60:61]
	s_add_u32 s0, s2, s0
	v_add_f64 v[8:9], v[8:9], v[42:43]
	v_add_f64 v[6:7], v[6:7], v[64:65]
	s_addc_u32 s1, s3, s1
	v_add_f64 v[8:9], v[8:9], v[44:45]
	v_add_f64 v[6:7], v[6:7], v[66:67]
	v_mov_b32_e32 v1, v36
	v_lshl_add_u64 v[34:35], v[34:35], 4, s[0:1]
	v_add_f64 v[8:9], v[8:9], v[52:53]
	v_add_f64 v[6:7], v[6:7], v[70:71]
	v_lshl_add_u64 v[0:1], v[0:1], 4, v[34:35]
	global_store_dwordx4 v[0:1], v[6:9], off
	v_fma_f64 v[84:85], v[94:95], s[8:9], -v[112:113]
	v_fma_f64 v[82:83], v[92:93], s[14:15], -v[110:111]
	v_add_u32_e32 v7, 11, v38
	v_mad_u64_u32 v[0:1], s[0:1], s4, v7, 0
	v_add_f64 v[84:85], v[84:85], v[86:87]
	v_mov_b32_e32 v6, v1
	v_fma_f64 v[80:81], v[88:89], s[16:17], -v[104:105]
	v_add_f64 v[82:83], v[82:83], v[84:85]
	v_mad_u64_u32 v[6:7], s[0:1], s5, v7, v[6:7]
	v_add_f64 v[80:81], v[80:81], v[82:83]
	v_mov_b32_e32 v1, v6
	v_add_f64 v[76:77], v[76:77], v[80:81]
	v_lshl_add_u64 v[0:1], v[0:1], 4, v[34:35]
	v_add_u32_e32 v7, 22, v38
	global_store_dwordx4 v[0:1], v[76:79], off
	v_mad_u64_u32 v[0:1], s[0:1], s4, v7, 0
	v_mov_b32_e32 v6, v1
	v_mad_u64_u32 v[6:7], s[0:1], s5, v7, v[6:7]
	v_mov_b32_e32 v1, v6
	v_lshl_add_u64 v[0:1], v[0:1], 4, v[34:35]
	v_add_u32_e32 v7, 33, v38
	global_store_dwordx4 v[0:1], v[116:119], off
	v_mad_u64_u32 v[0:1], s[0:1], s4, v7, 0
	v_mov_b32_e32 v6, v1
	v_mad_u64_u32 v[6:7], s[0:1], s5, v7, v[6:7]
	v_mov_b32_e32 v1, v6
	;; [unrolled: 7-line block ×5, first 2 shown]
	v_lshl_add_u64 v[0:1], v[0:1], 4, v[34:35]
	global_store_dwordx4 v[0:1], v[2:5], off
	v_add_f64 v[26:27], v[26:27], v[132:133]
	v_add_f64 v[98:99], v[98:99], v[120:121]
	v_add_u32_e32 v3, 0x4d, v38
	v_mad_u64_u32 v[0:1], s[0:1], s4, v3, 0
	v_mov_b32_e32 v2, v1
	v_mad_u64_u32 v[2:3], s[0:1], s5, v3, v[2:3]
	v_mov_b32_e32 v1, v2
	v_lshl_add_u64 v[0:1], v[0:1], 4, v[34:35]
	v_add_u32_e32 v3, 0x58, v38
	global_store_dwordx4 v[0:1], v[14:17], off
	v_mad_u64_u32 v[0:1], s[0:1], s4, v3, 0
	v_mov_b32_e32 v2, v1
	v_mad_u64_u32 v[2:3], s[0:1], s5, v3, v[2:3]
	v_mov_b32_e32 v1, v2
	v_lshl_add_u64 v[0:1], v[0:1], 4, v[34:35]
	v_add_u32_e32 v3, 0x63, v38
	global_store_dwordx4 v[0:1], v[22:25], off
	;; [unrolled: 7-line block ×3, first 2 shown]
	v_mad_u64_u32 v[0:1], s[0:1], s4, v3, 0
	v_mov_b32_e32 v2, v1
	v_mad_u64_u32 v[2:3], s[0:1], s5, v3, v[2:3]
	v_mov_b32_e32 v1, v2
	v_lshl_add_u64 v[0:1], v[0:1], 4, v[34:35]
	global_store_dwordx4 v[0:1], v[98:101], off
.LBB0_16:
	s_endpgm
	.section	.rodata,"a",@progbits
	.p2align	6, 0x0
	.amdhsa_kernel fft_rtc_fwd_len121_factors_11_11_wgs_121_tpt_11_dp_op_CI_CI_sbcc_dirReg
		.amdhsa_group_segment_fixed_size 0
		.amdhsa_private_segment_fixed_size 0
		.amdhsa_kernarg_size 112
		.amdhsa_user_sgpr_count 2
		.amdhsa_user_sgpr_dispatch_ptr 0
		.amdhsa_user_sgpr_queue_ptr 0
		.amdhsa_user_sgpr_kernarg_segment_ptr 1
		.amdhsa_user_sgpr_dispatch_id 0
		.amdhsa_user_sgpr_kernarg_preload_length 0
		.amdhsa_user_sgpr_kernarg_preload_offset 0
		.amdhsa_user_sgpr_private_segment_size 0
		.amdhsa_uses_dynamic_stack 0
		.amdhsa_enable_private_segment 0
		.amdhsa_system_sgpr_workgroup_id_x 1
		.amdhsa_system_sgpr_workgroup_id_y 0
		.amdhsa_system_sgpr_workgroup_id_z 0
		.amdhsa_system_sgpr_workgroup_info 0
		.amdhsa_system_vgpr_workitem_id 0
		.amdhsa_next_free_vgpr 138
		.amdhsa_next_free_sgpr 55
		.amdhsa_accum_offset 140
		.amdhsa_reserve_vcc 1
		.amdhsa_float_round_mode_32 0
		.amdhsa_float_round_mode_16_64 0
		.amdhsa_float_denorm_mode_32 3
		.amdhsa_float_denorm_mode_16_64 3
		.amdhsa_dx10_clamp 1
		.amdhsa_ieee_mode 1
		.amdhsa_fp16_overflow 0
		.amdhsa_tg_split 0
		.amdhsa_exception_fp_ieee_invalid_op 0
		.amdhsa_exception_fp_denorm_src 0
		.amdhsa_exception_fp_ieee_div_zero 0
		.amdhsa_exception_fp_ieee_overflow 0
		.amdhsa_exception_fp_ieee_underflow 0
		.amdhsa_exception_fp_ieee_inexact 0
		.amdhsa_exception_int_div_zero 0
	.end_amdhsa_kernel
	.text
.Lfunc_end0:
	.size	fft_rtc_fwd_len121_factors_11_11_wgs_121_tpt_11_dp_op_CI_CI_sbcc_dirReg, .Lfunc_end0-fft_rtc_fwd_len121_factors_11_11_wgs_121_tpt_11_dp_op_CI_CI_sbcc_dirReg
                                        ; -- End function
	.section	.AMDGPU.csdata,"",@progbits
; Kernel info:
; codeLenInByte = 8236
; NumSgprs: 61
; NumVgprs: 138
; NumAgprs: 0
; TotalNumVgprs: 138
; ScratchSize: 0
; MemoryBound: 1
; FloatMode: 240
; IeeeMode: 1
; LDSByteSize: 0 bytes/workgroup (compile time only)
; SGPRBlocks: 7
; VGPRBlocks: 17
; NumSGPRsForWavesPerEU: 61
; NumVGPRsForWavesPerEU: 138
; AccumOffset: 140
; Occupancy: 3
; WaveLimiterHint : 1
; COMPUTE_PGM_RSRC2:SCRATCH_EN: 0
; COMPUTE_PGM_RSRC2:USER_SGPR: 2
; COMPUTE_PGM_RSRC2:TRAP_HANDLER: 0
; COMPUTE_PGM_RSRC2:TGID_X_EN: 1
; COMPUTE_PGM_RSRC2:TGID_Y_EN: 0
; COMPUTE_PGM_RSRC2:TGID_Z_EN: 0
; COMPUTE_PGM_RSRC2:TIDIG_COMP_CNT: 0
; COMPUTE_PGM_RSRC3_GFX90A:ACCUM_OFFSET: 34
; COMPUTE_PGM_RSRC3_GFX90A:TG_SPLIT: 0
	.text
	.p2alignl 6, 3212836864
	.fill 256, 4, 3212836864
	.type	__hip_cuid_b81e6ccfde017f0b,@object ; @__hip_cuid_b81e6ccfde017f0b
	.section	.bss,"aw",@nobits
	.globl	__hip_cuid_b81e6ccfde017f0b
__hip_cuid_b81e6ccfde017f0b:
	.byte	0                               ; 0x0
	.size	__hip_cuid_b81e6ccfde017f0b, 1

	.ident	"AMD clang version 19.0.0git (https://github.com/RadeonOpenCompute/llvm-project roc-6.4.0 25133 c7fe45cf4b819c5991fe208aaa96edf142730f1d)"
	.section	".note.GNU-stack","",@progbits
	.addrsig
	.addrsig_sym __hip_cuid_b81e6ccfde017f0b
	.amdgpu_metadata
---
amdhsa.kernels:
  - .agpr_count:     0
    .args:
      - .actual_access:  read_only
        .address_space:  global
        .offset:         0
        .size:           8
        .value_kind:     global_buffer
      - .address_space:  global
        .offset:         8
        .size:           8
        .value_kind:     global_buffer
      - .offset:         16
        .size:           8
        .value_kind:     by_value
      - .actual_access:  read_only
        .address_space:  global
        .offset:         24
        .size:           8
        .value_kind:     global_buffer
      - .actual_access:  read_only
        .address_space:  global
        .offset:         32
        .size:           8
        .value_kind:     global_buffer
      - .actual_access:  read_only
        .address_space:  global
        .offset:         40
        .size:           8
        .value_kind:     global_buffer
      - .offset:         48
        .size:           8
        .value_kind:     by_value
      - .actual_access:  read_only
        .address_space:  global
        .offset:         56
        .size:           8
        .value_kind:     global_buffer
      - .actual_access:  read_only
        .address_space:  global
        .offset:         64
        .size:           8
        .value_kind:     global_buffer
      - .offset:         72
        .size:           4
        .value_kind:     by_value
      - .actual_access:  read_only
        .address_space:  global
        .offset:         80
        .size:           8
        .value_kind:     global_buffer
      - .actual_access:  read_only
        .address_space:  global
        .offset:         88
        .size:           8
        .value_kind:     global_buffer
      - .actual_access:  read_only
        .address_space:  global
        .offset:         96
        .size:           8
        .value_kind:     global_buffer
      - .actual_access:  write_only
        .address_space:  global
        .offset:         104
        .size:           8
        .value_kind:     global_buffer
    .group_segment_fixed_size: 0
    .kernarg_segment_align: 8
    .kernarg_segment_size: 112
    .language:       OpenCL C
    .language_version:
      - 2
      - 0
    .max_flat_workgroup_size: 121
    .name:           fft_rtc_fwd_len121_factors_11_11_wgs_121_tpt_11_dp_op_CI_CI_sbcc_dirReg
    .private_segment_fixed_size: 0
    .sgpr_count:     61
    .sgpr_spill_count: 0
    .symbol:         fft_rtc_fwd_len121_factors_11_11_wgs_121_tpt_11_dp_op_CI_CI_sbcc_dirReg.kd
    .uniform_work_group_size: 1
    .uses_dynamic_stack: false
    .vgpr_count:     138
    .vgpr_spill_count: 0
    .wavefront_size: 64
amdhsa.target:   amdgcn-amd-amdhsa--gfx950
amdhsa.version:
  - 1
  - 2
...

	.end_amdgpu_metadata
